;; amdgpu-corpus repo=ROCm/rocFFT kind=compiled arch=gfx906 opt=O3
	.text
	.amdgcn_target "amdgcn-amd-amdhsa--gfx906"
	.amdhsa_code_object_version 6
	.protected	fft_rtc_fwd_len1200_factors_5_5_16_3_wgs_225_tpt_75_halfLds_sp_ip_CI_unitstride_sbrr_dirReg ; -- Begin function fft_rtc_fwd_len1200_factors_5_5_16_3_wgs_225_tpt_75_halfLds_sp_ip_CI_unitstride_sbrr_dirReg
	.globl	fft_rtc_fwd_len1200_factors_5_5_16_3_wgs_225_tpt_75_halfLds_sp_ip_CI_unitstride_sbrr_dirReg
	.p2align	8
	.type	fft_rtc_fwd_len1200_factors_5_5_16_3_wgs_225_tpt_75_halfLds_sp_ip_CI_unitstride_sbrr_dirReg,@function
fft_rtc_fwd_len1200_factors_5_5_16_3_wgs_225_tpt_75_halfLds_sp_ip_CI_unitstride_sbrr_dirReg: ; @fft_rtc_fwd_len1200_factors_5_5_16_3_wgs_225_tpt_75_halfLds_sp_ip_CI_unitstride_sbrr_dirReg
; %bb.0:
	v_mul_u32_u24_e32 v1, 0x36a, v0
	s_load_dwordx2 s[12:13], s[4:5], 0x50
	s_load_dwordx4 s[8:11], s[4:5], 0x0
	s_load_dwordx2 s[2:3], s[4:5], 0x18
	v_lshrrev_b32_e32 v1, 16, v1
	v_mad_u64_u32 v[20:21], s[0:1], s6, 3, v[1:2]
	v_mov_b32_e32 v3, 0
	s_waitcnt lgkmcnt(0)
	v_cmp_lt_u64_e64 s[0:1], s[10:11], 2
	v_mov_b32_e32 v21, v3
	v_mov_b32_e32 v1, 0
	;; [unrolled: 1-line block ×3, first 2 shown]
	s_and_b64 vcc, exec, s[0:1]
	v_mov_b32_e32 v2, 0
	v_mov_b32_e32 v8, v21
	s_cbranch_vccnz .LBB0_8
; %bb.1:
	s_load_dwordx2 s[0:1], s[4:5], 0x10
	s_add_u32 s6, s2, 8
	s_addc_u32 s7, s3, 0
	v_mov_b32_e32 v1, 0
	v_mov_b32_e32 v5, v20
	s_waitcnt lgkmcnt(0)
	s_add_u32 s16, s0, 8
	s_mov_b64 s[14:15], 1
	v_mov_b32_e32 v2, 0
	s_addc_u32 s17, s1, 0
	v_mov_b32_e32 v6, v21
.LBB0_2:                                ; =>This Inner Loop Header: Depth=1
	s_load_dwordx2 s[18:19], s[16:17], 0x0
                                        ; implicit-def: $vgpr7_vgpr8
	s_waitcnt lgkmcnt(0)
	v_or_b32_e32 v4, s19, v6
	v_cmp_ne_u64_e32 vcc, 0, v[3:4]
	s_and_saveexec_b64 s[0:1], vcc
	s_xor_b64 s[20:21], exec, s[0:1]
	s_cbranch_execz .LBB0_4
; %bb.3:                                ;   in Loop: Header=BB0_2 Depth=1
	v_cvt_f32_u32_e32 v4, s18
	v_cvt_f32_u32_e32 v7, s19
	s_sub_u32 s0, 0, s18
	s_subb_u32 s1, 0, s19
	v_mac_f32_e32 v4, 0x4f800000, v7
	v_rcp_f32_e32 v4, v4
	v_mul_f32_e32 v4, 0x5f7ffffc, v4
	v_mul_f32_e32 v7, 0x2f800000, v4
	v_trunc_f32_e32 v7, v7
	v_mac_f32_e32 v4, 0xcf800000, v7
	v_cvt_u32_f32_e32 v7, v7
	v_cvt_u32_f32_e32 v4, v4
	v_mul_lo_u32 v8, s0, v7
	v_mul_hi_u32 v9, s0, v4
	v_mul_lo_u32 v11, s1, v4
	v_mul_lo_u32 v10, s0, v4
	v_add_u32_e32 v8, v9, v8
	v_add_u32_e32 v8, v8, v11
	v_mul_hi_u32 v9, v4, v10
	v_mul_lo_u32 v11, v4, v8
	v_mul_hi_u32 v13, v4, v8
	v_mul_hi_u32 v12, v7, v10
	v_mul_lo_u32 v10, v7, v10
	v_mul_hi_u32 v14, v7, v8
	v_add_co_u32_e32 v9, vcc, v9, v11
	v_addc_co_u32_e32 v11, vcc, 0, v13, vcc
	v_mul_lo_u32 v8, v7, v8
	v_add_co_u32_e32 v9, vcc, v9, v10
	v_addc_co_u32_e32 v9, vcc, v11, v12, vcc
	v_addc_co_u32_e32 v10, vcc, 0, v14, vcc
	v_add_co_u32_e32 v8, vcc, v9, v8
	v_addc_co_u32_e32 v9, vcc, 0, v10, vcc
	v_add_co_u32_e32 v4, vcc, v4, v8
	v_addc_co_u32_e32 v7, vcc, v7, v9, vcc
	v_mul_lo_u32 v8, s0, v7
	v_mul_hi_u32 v9, s0, v4
	v_mul_lo_u32 v10, s1, v4
	v_mul_lo_u32 v11, s0, v4
	v_add_u32_e32 v8, v9, v8
	v_add_u32_e32 v8, v8, v10
	v_mul_lo_u32 v12, v4, v8
	v_mul_hi_u32 v13, v4, v11
	v_mul_hi_u32 v14, v4, v8
	;; [unrolled: 1-line block ×3, first 2 shown]
	v_mul_lo_u32 v11, v7, v11
	v_mul_hi_u32 v9, v7, v8
	v_add_co_u32_e32 v12, vcc, v13, v12
	v_addc_co_u32_e32 v13, vcc, 0, v14, vcc
	v_mul_lo_u32 v8, v7, v8
	v_add_co_u32_e32 v11, vcc, v12, v11
	v_addc_co_u32_e32 v10, vcc, v13, v10, vcc
	v_addc_co_u32_e32 v9, vcc, 0, v9, vcc
	v_add_co_u32_e32 v8, vcc, v10, v8
	v_addc_co_u32_e32 v9, vcc, 0, v9, vcc
	v_add_co_u32_e32 v4, vcc, v4, v8
	v_addc_co_u32_e32 v9, vcc, v7, v9, vcc
	v_mad_u64_u32 v[7:8], s[0:1], v5, v9, 0
	v_mul_hi_u32 v10, v5, v4
	v_add_co_u32_e32 v11, vcc, v10, v7
	v_addc_co_u32_e32 v12, vcc, 0, v8, vcc
	v_mad_u64_u32 v[7:8], s[0:1], v6, v4, 0
	v_mad_u64_u32 v[9:10], s[0:1], v6, v9, 0
	v_add_co_u32_e32 v4, vcc, v11, v7
	v_addc_co_u32_e32 v4, vcc, v12, v8, vcc
	v_addc_co_u32_e32 v7, vcc, 0, v10, vcc
	v_add_co_u32_e32 v4, vcc, v4, v9
	v_addc_co_u32_e32 v9, vcc, 0, v7, vcc
	v_mul_lo_u32 v10, s19, v4
	v_mul_lo_u32 v11, s18, v9
	v_mad_u64_u32 v[7:8], s[0:1], s18, v4, 0
	v_add3_u32 v8, v8, v11, v10
	v_sub_u32_e32 v10, v6, v8
	v_mov_b32_e32 v11, s19
	v_sub_co_u32_e32 v7, vcc, v5, v7
	v_subb_co_u32_e64 v10, s[0:1], v10, v11, vcc
	v_subrev_co_u32_e64 v11, s[0:1], s18, v7
	v_subbrev_co_u32_e64 v10, s[0:1], 0, v10, s[0:1]
	v_cmp_le_u32_e64 s[0:1], s19, v10
	v_cndmask_b32_e64 v12, 0, -1, s[0:1]
	v_cmp_le_u32_e64 s[0:1], s18, v11
	v_cndmask_b32_e64 v11, 0, -1, s[0:1]
	v_cmp_eq_u32_e64 s[0:1], s19, v10
	v_cndmask_b32_e64 v10, v12, v11, s[0:1]
	v_add_co_u32_e64 v11, s[0:1], 2, v4
	v_addc_co_u32_e64 v12, s[0:1], 0, v9, s[0:1]
	v_add_co_u32_e64 v13, s[0:1], 1, v4
	v_addc_co_u32_e64 v14, s[0:1], 0, v9, s[0:1]
	v_subb_co_u32_e32 v8, vcc, v6, v8, vcc
	v_cmp_ne_u32_e64 s[0:1], 0, v10
	v_cmp_le_u32_e32 vcc, s19, v8
	v_cndmask_b32_e64 v10, v14, v12, s[0:1]
	v_cndmask_b32_e64 v12, 0, -1, vcc
	v_cmp_le_u32_e32 vcc, s18, v7
	v_cndmask_b32_e64 v7, 0, -1, vcc
	v_cmp_eq_u32_e32 vcc, s19, v8
	v_cndmask_b32_e32 v7, v12, v7, vcc
	v_cmp_ne_u32_e32 vcc, 0, v7
	v_cndmask_b32_e64 v7, v13, v11, s[0:1]
	v_cndmask_b32_e32 v8, v9, v10, vcc
	v_cndmask_b32_e32 v7, v4, v7, vcc
.LBB0_4:                                ;   in Loop: Header=BB0_2 Depth=1
	s_andn2_saveexec_b64 s[0:1], s[20:21]
	s_cbranch_execz .LBB0_6
; %bb.5:                                ;   in Loop: Header=BB0_2 Depth=1
	v_cvt_f32_u32_e32 v4, s18
	s_sub_i32 s20, 0, s18
	v_rcp_iflag_f32_e32 v4, v4
	v_mul_f32_e32 v4, 0x4f7ffffe, v4
	v_cvt_u32_f32_e32 v4, v4
	v_mul_lo_u32 v7, s20, v4
	v_mul_hi_u32 v7, v4, v7
	v_add_u32_e32 v4, v4, v7
	v_mul_hi_u32 v4, v5, v4
	v_mul_lo_u32 v7, v4, s18
	v_add_u32_e32 v8, 1, v4
	v_sub_u32_e32 v7, v5, v7
	v_subrev_u32_e32 v9, s18, v7
	v_cmp_le_u32_e32 vcc, s18, v7
	v_cndmask_b32_e32 v7, v7, v9, vcc
	v_cndmask_b32_e32 v4, v4, v8, vcc
	v_add_u32_e32 v8, 1, v4
	v_cmp_le_u32_e32 vcc, s18, v7
	v_cndmask_b32_e32 v7, v4, v8, vcc
	v_mov_b32_e32 v8, v3
.LBB0_6:                                ;   in Loop: Header=BB0_2 Depth=1
	s_or_b64 exec, exec, s[0:1]
	v_mul_lo_u32 v4, v8, s18
	v_mul_lo_u32 v11, v7, s19
	v_mad_u64_u32 v[9:10], s[0:1], v7, s18, 0
	s_load_dwordx2 s[0:1], s[6:7], 0x0
	s_add_u32 s14, s14, 1
	v_add3_u32 v4, v10, v11, v4
	v_sub_co_u32_e32 v5, vcc, v5, v9
	v_subb_co_u32_e32 v4, vcc, v6, v4, vcc
	s_waitcnt lgkmcnt(0)
	v_mul_lo_u32 v4, s0, v4
	v_mul_lo_u32 v6, s1, v5
	v_mad_u64_u32 v[1:2], s[0:1], s0, v5, v[1:2]
	s_addc_u32 s15, s15, 0
	s_add_u32 s6, s6, 8
	v_add3_u32 v2, v6, v2, v4
	v_mov_b32_e32 v4, s10
	v_mov_b32_e32 v5, s11
	s_addc_u32 s7, s7, 0
	v_cmp_ge_u64_e32 vcc, s[14:15], v[4:5]
	s_add_u32 s16, s16, 8
	s_addc_u32 s17, s17, 0
	s_cbranch_vccnz .LBB0_8
; %bb.7:                                ;   in Loop: Header=BB0_2 Depth=1
	v_mov_b32_e32 v5, v7
	v_mov_b32_e32 v6, v8
	s_branch .LBB0_2
.LBB0_8:
	s_lshl_b64 s[0:1], s[10:11], 3
	s_add_u32 s0, s2, s0
	s_addc_u32 s1, s3, s1
	s_load_dwordx2 s[2:3], s[0:1], 0x0
	s_load_dwordx2 s[6:7], s[4:5], 0x20
                                        ; implicit-def: $vgpr43
                                        ; implicit-def: $vgpr45
                                        ; implicit-def: $vgpr39
                                        ; implicit-def: $vgpr41
                                        ; implicit-def: $vgpr9
                                        ; implicit-def: $vgpr33
                                        ; implicit-def: $vgpr37
                                        ; implicit-def: $vgpr31
                                        ; implicit-def: $vgpr35
                                        ; implicit-def: $vgpr11
                                        ; implicit-def: $vgpr27
                                        ; implicit-def: $vgpr15
                                        ; implicit-def: $vgpr13
                                        ; implicit-def: $vgpr23
                                        ; implicit-def: $vgpr29
                                        ; implicit-def: $vgpr25
                                        ; implicit-def: $vgpr19
                                        ; implicit-def: $vgpr17
	s_waitcnt lgkmcnt(0)
	v_mad_u64_u32 v[1:2], s[0:1], s2, v7, v[1:2]
	v_mul_lo_u32 v3, s2, v8
	v_mul_lo_u32 v4, s3, v7
	s_mov_b32 s0, 0x369d037
	v_mul_hi_u32 v5, v0, s0
	v_cmp_gt_u64_e64 s[0:1], s[6:7], v[7:8]
	v_add3_u32 v2, v4, v2, v3
	v_lshlrev_b64 v[6:7], 3, v[1:2]
	v_mul_u32_u24_e32 v3, 0x4b, v5
	v_sub_u32_e32 v4, v0, v3
                                        ; implicit-def: $vgpr3
                                        ; implicit-def: $vgpr1
	s_and_saveexec_b64 s[2:3], s[0:1]
	s_cbranch_execz .LBB0_12
; %bb.9:
	v_mov_b32_e32 v5, 0
	v_mov_b32_e32 v0, s13
	v_add_co_u32_e32 v2, vcc, s12, v6
	v_addc_co_u32_e32 v3, vcc, v0, v7, vcc
	v_lshlrev_b64 v[0:1], 3, v[4:5]
                                        ; implicit-def: $vgpr18
                                        ; implicit-def: $vgpr24
                                        ; implicit-def: $vgpr28
	v_add_co_u32_e32 v46, vcc, v2, v0
	v_addc_co_u32_e32 v47, vcc, v3, v1, vcc
	v_add_co_u32_e32 v0, vcc, 0x1000, v46
	v_addc_co_u32_e32 v1, vcc, 0, v47, vcc
	;; [unrolled: 2-line block ×3, first 2 shown]
	global_load_dwordx2 v[12:13], v[0:1], off offset:2864
	global_load_dwordx2 v[30:31], v[0:1], off offset:2264
	;; [unrolled: 1-line block ×7, first 2 shown]
	global_load_dwordx2 v[2:3], v[46:47], off
	global_load_dwordx2 v[8:9], v[46:47], off offset:600
	global_load_dwordx2 v[32:33], v[46:47], off offset:2520
	;; [unrolled: 1-line block ×7, first 2 shown]
	v_cmp_gt_u32_e32 vcc, 15, v4
                                        ; implicit-def: $vgpr0
                                        ; implicit-def: $vgpr16
	s_and_saveexec_b64 s[4:5], vcc
	s_cbranch_execz .LBB0_11
; %bb.10:
	v_add_co_u32_e32 v28, vcc, 0x1000, v46
	v_addc_co_u32_e32 v29, vcc, 0, v47, vcc
	global_load_dwordx2 v[0:1], v[46:47], off offset:1800
	global_load_dwordx2 v[16:17], v[46:47], off offset:3720
	;; [unrolled: 1-line block ×4, first 2 shown]
	v_add_co_u32_e32 v28, vcc, 0x2000, v46
	v_addc_co_u32_e32 v29, vcc, 0, v47, vcc
	global_load_dwordx2 v[28:29], v[28:29], off offset:1288
.LBB0_11:
	s_or_b64 exec, exec, s[4:5]
.LBB0_12:
	s_or_b64 exec, exec, s[2:3]
	s_mov_b32 s2, 0xaaaaaaab
	v_mul_hi_u32 v5, v20, s2
	s_waitcnt vmcnt(1)
	v_sub_f32_e32 v21, v42, v44
	v_sub_f32_e32 v46, v40, v38
	v_add_f32_e32 v21, v21, v46
	v_lshrrev_b32_e32 v5, 1, v5
	v_lshl_add_u32 v5, v5, 1, v5
	v_sub_u32_e32 v5, v20, v5
	v_mul_u32_u24_e32 v46, 0x4b0, v5
	v_add_f32_e32 v5, v2, v42
	v_add_f32_e32 v5, v5, v44
	;; [unrolled: 1-line block ×5, first 2 shown]
	v_fma_f32 v47, -0.5, v5, v2
	v_sub_f32_e32 v48, v43, v41
	v_mov_b32_e32 v49, v47
	v_fmac_f32_e32 v49, 0x3f737871, v48
	v_sub_f32_e32 v50, v45, v39
	v_fmac_f32_e32 v49, 0x3f167918, v50
	v_mad_u32_u24 v51, v4, 20, 0
	v_lshlrev_b32_e32 v5, 2, v46
	v_fmac_f32_e32 v49, 0x3e9e377a, v21
	v_add_u32_e32 v66, v51, v5
	v_add_f32_e32 v52, v36, v30
	ds_write2_b32 v66, v20, v49 offset1:1
	v_sub_f32_e32 v20, v32, v36
	v_sub_f32_e32 v49, v34, v30
	v_fma_f32 v52, -0.5, v52, v8
	v_add_f32_e32 v20, v20, v49
	v_add_f32_e32 v49, v8, v32
	v_sub_f32_e32 v53, v33, v35
	v_mov_b32_e32 v54, v52
	v_add_f32_e32 v49, v49, v36
	v_fmac_f32_e32 v54, 0x3f737871, v53
	v_sub_f32_e32 v55, v37, v31
	v_add_f32_e32 v49, v49, v30
	v_fmac_f32_e32 v54, 0x3f167918, v55
	v_add_f32_e32 v49, v49, v34
	v_fmac_f32_e32 v54, 0x3e9e377a, v20
	v_add_u32_e32 v67, 0x5dc, v66
	ds_write2_b32 v67, v49, v54 offset1:1
	v_add_f32_e32 v49, v32, v34
	v_fmac_f32_e32 v8, -0.5, v49
	v_sub_f32_e32 v49, v36, v32
	v_sub_f32_e32 v54, v30, v34
	v_add_f32_e32 v49, v49, v54
	v_mov_b32_e32 v54, v8
	v_fmac_f32_e32 v54, 0xbf737871, v55
	v_fmac_f32_e32 v8, 0x3f737871, v55
	v_fmac_f32_e32 v54, 0x3f167918, v53
	v_fmac_f32_e32 v8, 0xbf167918, v53
	v_fmac_f32_e32 v54, 0x3e9e377a, v49
	v_fmac_f32_e32 v8, 0x3e9e377a, v49
	v_add_u32_e32 v49, 0x5e4, v66
	ds_write2_b32 v49, v54, v8 offset1:1
	s_waitcnt vmcnt(0)
	v_sub_f32_e32 v8, v26, v14
	v_sub_f32_e32 v49, v22, v12
	v_add_f32_e32 v49, v8, v49
	v_add_f32_e32 v8, v10, v26
	;; [unrolled: 1-line block ×4, first 2 shown]
	v_fmac_f32_e32 v47, 0xbf737871, v48
	v_add_f32_e32 v54, v8, v22
	v_add_f32_e32 v8, v14, v12
	v_fmac_f32_e32 v47, 0xbf167918, v50
	v_fma_f32 v56, -0.5, v8, v10
	v_fmac_f32_e32 v47, 0x3e9e377a, v21
	v_add_f32_e32 v21, v42, v40
	v_fmac_f32_e32 v52, 0xbf737871, v53
	v_sub_f32_e32 v57, v27, v23
	v_mov_b32_e32 v58, v56
	v_add_u32_e32 v8, 0xbb8, v51
	v_fmac_f32_e32 v2, -0.5, v21
	v_sub_f32_e32 v21, v44, v42
	v_sub_f32_e32 v51, v38, v40
	v_fmac_f32_e32 v52, 0xbf167918, v55
	v_fmac_f32_e32 v58, 0x3f737871, v57
	v_sub_f32_e32 v59, v15, v13
	v_add_f32_e32 v21, v21, v51
	v_mov_b32_e32 v51, v2
	v_fmac_f32_e32 v52, 0x3e9e377a, v20
	v_fmac_f32_e32 v56, 0xbf737871, v57
	v_add_f32_e32 v20, v26, v22
	v_fmac_f32_e32 v58, 0x3f167918, v59
	v_fmac_f32_e32 v51, 0xbf737871, v50
	;; [unrolled: 1-line block ×4, first 2 shown]
	v_fmac_f32_e32 v10, -0.5, v20
	v_fmac_f32_e32 v58, 0x3e9e377a, v49
	v_fmac_f32_e32 v51, 0x3f167918, v48
	;; [unrolled: 1-line block ×4, first 2 shown]
	v_mov_b32_e32 v49, v10
	v_fmac_f32_e32 v51, 0x3e9e377a, v21
	v_fmac_f32_e32 v2, 0x3e9e377a, v21
	v_sub_f32_e32 v20, v14, v26
	v_sub_f32_e32 v21, v12, v22
	v_fmac_f32_e32 v49, 0xbf737871, v59
	v_fmac_f32_e32 v10, 0x3f737871, v59
	v_add_f32_e32 v20, v20, v21
	v_fmac_f32_e32 v49, 0x3f167918, v57
	v_fmac_f32_e32 v10, 0xbf167918, v57
	;; [unrolled: 1-line block ×4, first 2 shown]
	v_sub_f32_e32 v20, v16, v18
	v_sub_f32_e32 v21, v28, v24
	v_add_f32_e32 v48, v21, v20
	v_add_f32_e32 v21, v24, v18
	v_fma_f32 v65, -0.5, v21, v0
	v_mov_b32_e32 v21, v65
	v_sub_f32_e32 v50, v17, v29
	v_fmac_f32_e32 v21, 0x3f737871, v50
	v_sub_f32_e32 v53, v19, v25
	v_fmac_f32_e32 v65, 0xbf737871, v50
	v_fmac_f32_e32 v21, 0x3f167918, v53
	;; [unrolled: 1-line block ×3, first 2 shown]
	v_add_u32_e32 v68, v8, v5
	v_fmac_f32_e32 v21, 0x3e9e377a, v48
	v_fmac_f32_e32 v65, 0x3e9e377a, v48
	v_add_f32_e32 v48, v28, v16
	ds_write2_b32 v68, v54, v58 offset1:1
	v_add_f32_e32 v20, v16, v0
	v_fmac_f32_e32 v0, -0.5, v48
	v_sub_f32_e32 v48, v18, v16
	v_sub_f32_e32 v54, v24, v28
	v_add_f32_e32 v54, v54, v48
	v_mov_b32_e32 v48, v0
	v_add_f32_e32 v20, v18, v20
	v_fmac_f32_e32 v48, 0xbf737871, v53
	v_fmac_f32_e32 v0, 0x3f737871, v53
	v_add_f32_e32 v20, v24, v20
	v_fmac_f32_e32 v48, 0x3f167918, v50
	v_fmac_f32_e32 v0, 0xbf167918, v50
	;; [unrolled: 3-line block ×3, first 2 shown]
	v_cmp_gt_u32_e32 vcc, 15, v4
	ds_write2_b32 v66, v51, v2 offset0:2 offset1:3
	ds_write_b32 v66, v47 offset:16
	ds_write_b32 v66, v52 offset:1516
	ds_write2_b32 v68, v49, v10 offset0:2 offset1:3
	ds_write_b32 v68, v56 offset:16
	s_and_saveexec_b64 s[2:3], vcc
	s_cbranch_execz .LBB0_14
; %bb.13:
	v_lshl_add_u32 v2, v46, 2, v8
	v_add_u32_e32 v8, 0x5dc, v2
	ds_write2_b32 v8, v20, v21 offset1:1
	v_add_u32_e32 v8, 0x5e4, v2
	ds_write2_b32 v8, v48, v0 offset1:1
	ds_write_b32 v2, v65 offset:1516
.LBB0_14:
	s_or_b64 exec, exec, s[2:3]
	v_lshlrev_b32_e32 v2, 2, v4
	v_add3_u32 v62, 0, v2, v5
	v_add3_u32 v63, 0, v5, v2
	v_add_u32_e32 v2, 0x200, v62
	s_waitcnt lgkmcnt(0)
	s_barrier
	ds_read2_b32 v[60:61], v2 offset0:112 offset1:187
	v_add_u32_e32 v2, 0x400, v62
	ds_read2_b32 v[54:55], v2 offset0:134 offset1:224
	v_add_u32_e32 v2, 0xa00, v62
	;; [unrolled: 2-line block ×3, first 2 shown]
	ds_read_b32 v64, v63
	ds_read2_b32 v[50:51], v2 offset0:102 offset1:192
	ds_read2_b32 v[46:47], v62 offset0:75 offset1:150
	v_add_u32_e32 v2, 0x800, v62
	ds_read2_b32 v[56:57], v2 offset0:43 offset1:118
	v_add_u32_e32 v2, 0x1000, v62
	ds_read2_b32 v[52:53], v2 offset0:11 offset1:86
	s_and_saveexec_b64 s[2:3], vcc
	s_cbranch_execz .LBB0_16
; %bb.15:
	v_add_u32_e32 v0, 0x380, v62
	ds_read2_b32 v[20:21], v0 offset0:1 offset1:241
	v_add_u32_e32 v0, 0xb00, v62
	ds_read2_b32 v[48:49], v0 offset0:1 offset1:241
	ds_read_b32 v65, v62 offset:4740
	s_waitcnt lgkmcnt(1)
	v_mov_b32_e32 v0, v49
.LBB0_16:
	s_or_b64 exec, exec, s[2:3]
	v_add_f32_e32 v8, v45, v39
	v_fma_f32 v10, -0.5, v8, v3
	v_sub_f32_e32 v8, v42, v40
	v_mov_b32_e32 v40, v10
	v_fmac_f32_e32 v40, 0xbf737871, v8
	v_sub_f32_e32 v38, v44, v38
	v_sub_f32_e32 v42, v43, v45
	;; [unrolled: 1-line block ×3, first 2 shown]
	v_fmac_f32_e32 v10, 0x3f737871, v8
	v_fmac_f32_e32 v40, 0xbf167918, v38
	v_add_f32_e32 v42, v42, v44
	v_fmac_f32_e32 v10, 0x3f167918, v38
	v_fmac_f32_e32 v40, 0x3e9e377a, v42
	;; [unrolled: 1-line block ×3, first 2 shown]
	v_add_f32_e32 v42, v43, v41
	v_add_f32_e32 v2, v3, v43
	v_fmac_f32_e32 v3, -0.5, v42
	v_mov_b32_e32 v42, v3
	v_fmac_f32_e32 v42, 0x3f737871, v38
	v_fmac_f32_e32 v3, 0xbf737871, v38
	v_add_f32_e32 v2, v2, v45
	v_fmac_f32_e32 v42, 0xbf167918, v8
	v_fmac_f32_e32 v3, 0x3f167918, v8
	v_add_f32_e32 v8, v9, v33
	v_add_f32_e32 v2, v2, v39
	v_sub_f32_e32 v43, v45, v43
	v_sub_f32_e32 v39, v39, v41
	v_add_f32_e32 v8, v8, v37
	v_add_f32_e32 v39, v43, v39
	;; [unrolled: 1-line block ×3, first 2 shown]
	v_fmac_f32_e32 v42, 0x3e9e377a, v39
	v_fmac_f32_e32 v3, 0x3e9e377a, v39
	v_add_f32_e32 v39, v8, v35
	v_add_f32_e32 v8, v37, v31
	;; [unrolled: 1-line block ×3, first 2 shown]
	v_fma_f32 v41, -0.5, v8, v9
	v_sub_f32_e32 v8, v32, v34
	v_mov_b32_e32 v32, v41
	v_fmac_f32_e32 v32, 0xbf737871, v8
	v_sub_f32_e32 v30, v36, v30
	v_sub_f32_e32 v34, v33, v37
	;; [unrolled: 1-line block ×3, first 2 shown]
	v_fmac_f32_e32 v41, 0x3f737871, v8
	v_fmac_f32_e32 v32, 0xbf167918, v30
	v_add_f32_e32 v34, v34, v36
	v_fmac_f32_e32 v41, 0x3f167918, v30
	v_fmac_f32_e32 v32, 0x3e9e377a, v34
	;; [unrolled: 1-line block ×3, first 2 shown]
	v_add_f32_e32 v34, v33, v35
	v_fmac_f32_e32 v9, -0.5, v34
	v_mov_b32_e32 v34, v9
	v_fmac_f32_e32 v34, 0x3f737871, v30
	v_fmac_f32_e32 v9, 0xbf737871, v30
	;; [unrolled: 1-line block ×4, first 2 shown]
	v_add_f32_e32 v8, v11, v27
	v_add_f32_e32 v8, v8, v15
	v_sub_f32_e32 v33, v37, v33
	v_sub_f32_e32 v31, v31, v35
	v_add_f32_e32 v8, v8, v13
	v_add_f32_e32 v31, v33, v31
	;; [unrolled: 1-line block ×4, first 2 shown]
	v_fmac_f32_e32 v34, 0x3e9e377a, v31
	v_fmac_f32_e32 v9, 0x3e9e377a, v31
	v_fma_f32 v31, -0.5, v8, v11
	v_sub_f32_e32 v8, v26, v22
	v_mov_b32_e32 v22, v31
	v_fmac_f32_e32 v22, 0xbf737871, v8
	v_sub_f32_e32 v12, v14, v12
	v_sub_f32_e32 v14, v27, v15
	;; [unrolled: 1-line block ×3, first 2 shown]
	v_fmac_f32_e32 v31, 0x3f737871, v8
	v_fmac_f32_e32 v22, 0xbf167918, v12
	v_add_f32_e32 v14, v14, v26
	v_fmac_f32_e32 v31, 0x3f167918, v12
	v_fmac_f32_e32 v22, 0x3e9e377a, v14
	v_fmac_f32_e32 v31, 0x3e9e377a, v14
	v_add_f32_e32 v14, v27, v23
	v_fmac_f32_e32 v11, -0.5, v14
	v_mov_b32_e32 v14, v11
	v_fmac_f32_e32 v14, 0x3f737871, v12
	v_fmac_f32_e32 v11, 0xbf737871, v12
	v_fmac_f32_e32 v14, 0xbf167918, v8
	v_fmac_f32_e32 v11, 0x3f167918, v8
	v_add_f32_e32 v8, v17, v1
	v_add_f32_e32 v8, v19, v8
	;; [unrolled: 1-line block ×3, first 2 shown]
	v_sub_f32_e32 v15, v15, v27
	v_sub_f32_e32 v13, v13, v23
	v_add_f32_e32 v12, v29, v8
	v_add_f32_e32 v8, v25, v19
	;; [unrolled: 1-line block ×3, first 2 shown]
	v_fma_f32 v38, -0.5, v8, v1
	v_fmac_f32_e32 v14, 0x3e9e377a, v13
	v_fmac_f32_e32 v11, 0x3e9e377a, v13
	v_sub_f32_e32 v15, v16, v28
	v_mov_b32_e32 v13, v38
	v_fmac_f32_e32 v13, 0xbf737871, v15
	v_sub_f32_e32 v16, v18, v24
	v_sub_f32_e32 v8, v17, v19
	;; [unrolled: 1-line block ×3, first 2 shown]
	v_fmac_f32_e32 v38, 0x3f737871, v15
	v_fmac_f32_e32 v13, 0xbf167918, v16
	v_add_f32_e32 v8, v18, v8
	v_fmac_f32_e32 v38, 0x3f167918, v16
	v_fmac_f32_e32 v13, 0x3e9e377a, v8
	v_fmac_f32_e32 v38, 0x3e9e377a, v8
	v_add_f32_e32 v8, v29, v17
	v_fmac_f32_e32 v1, -0.5, v8
	v_mov_b32_e32 v8, v1
	v_fmac_f32_e32 v8, 0x3f737871, v16
	v_sub_f32_e32 v17, v19, v17
	v_sub_f32_e32 v18, v25, v29
	v_fmac_f32_e32 v1, 0xbf737871, v16
	v_fmac_f32_e32 v8, 0xbf167918, v15
	v_add_f32_e32 v17, v18, v17
	v_fmac_f32_e32 v1, 0x3f167918, v15
	v_fmac_f32_e32 v8, 0x3e9e377a, v17
	;; [unrolled: 1-line block ×3, first 2 shown]
	v_add_u32_e32 v36, 0xe1, v4
	s_waitcnt lgkmcnt(0)
	s_barrier
	ds_write2_b32 v66, v2, v40 offset1:1
	ds_write2_b32 v66, v42, v3 offset0:2 offset1:3
	ds_write_b32 v66, v10 offset:16
	ds_write2_b32 v67, v39, v32 offset1:1
	ds_write2_b32 v67, v34, v9 offset0:2 offset1:3
	ds_write_b32 v67, v41 offset:16
	;; [unrolled: 3-line block ×3, first 2 shown]
	s_and_saveexec_b64 s[2:3], vcc
	s_cbranch_execz .LBB0_18
; %bb.17:
	v_mul_u32_u24_e32 v2, 20, v36
	v_add3_u32 v2, 0, v2, v5
	ds_write2_b32 v2, v12, v13 offset1:1
	ds_write2_b32 v2, v8, v1 offset0:2 offset1:3
	ds_write_b32 v2, v38 offset:16
.LBB0_18:
	s_or_b64 exec, exec, s[2:3]
	v_add_u32_e32 v2, 0x200, v62
	s_waitcnt lgkmcnt(0)
	s_barrier
	ds_read2_b32 v[24:25], v2 offset0:112 offset1:187
	v_add_u32_e32 v2, 0x400, v62
	ds_read2_b32 v[16:17], v2 offset0:134 offset1:224
	v_add_u32_e32 v2, 0xa00, v62
	ds_read2_b32 v[22:23], v2 offset0:80 offset1:155
	v_add_u32_e32 v2, 0xc00, v62
	v_add_u32_e32 v9, 0x800, v62
	ds_read_b32 v26, v63
	ds_read2_b32 v[10:11], v2 offset0:102 offset1:192
	ds_read2_b32 v[2:3], v62 offset0:75 offset1:150
	;; [unrolled: 1-line block ×3, first 2 shown]
	v_add_u32_e32 v9, 0x1000, v62
	ds_read2_b32 v[14:15], v9 offset0:11 offset1:86
	s_and_saveexec_b64 s[2:3], vcc
	s_cbranch_execz .LBB0_20
; %bb.19:
	v_add_u32_e32 v1, 0x380, v62
	ds_read2_b32 v[12:13], v1 offset0:1 offset1:241
	v_add_u32_e32 v1, 0xb00, v62
	ds_read2_b32 v[8:9], v1 offset0:1 offset1:241
	ds_read_b32 v38, v62 offset:4740
	s_waitcnt lgkmcnt(1)
	v_mov_b32_e32 v1, v9
.LBB0_20:
	s_or_b64 exec, exec, s[2:3]
	s_movk_i32 s4, 0xcd
	v_mul_lo_u16_sdwa v9, v4, s4 dst_sel:DWORD dst_unused:UNUSED_PAD src0_sel:BYTE_0 src1_sel:DWORD
	v_lshrrev_b16_e32 v86, 10, v9
	v_mul_lo_u16_e32 v9, 5, v86
	v_sub_u16_e32 v9, v4, v9
	v_mov_b32_e32 v27, 5
	v_lshlrev_b32_sdwa v28, v27, v9 dst_sel:DWORD dst_unused:UNUSED_PAD src0_sel:DWORD src1_sel:BYTE_0
	v_add_u32_e32 v40, 0x4b, v4
	global_load_dwordx4 v[32:35], v28, s[8:9]
	global_load_dwordx4 v[66:69], v28, s[8:9] offset:16
	v_mul_lo_u16_sdwa v28, v40, s4 dst_sel:DWORD dst_unused:UNUSED_PAD src0_sel:BYTE_0 src1_sel:DWORD
	v_lshrrev_b16_e32 v87, 10, v28
	v_mul_lo_u16_e32 v28, 5, v87
	v_sub_u16_e32 v28, v40, v28
	v_lshlrev_b32_sdwa v29, v27, v28 dst_sel:DWORD dst_unused:UNUSED_PAD src0_sel:DWORD src1_sel:BYTE_0
	global_load_dwordx4 v[70:73], v29, s[8:9]
	global_load_dwordx4 v[74:77], v29, s[8:9] offset:16
	v_add_u32_e32 v37, 0x96, v4
	s_mov_b32 s2, 0xcccd
	v_mul_lo_u16_sdwa v29, v37, s4 dst_sel:DWORD dst_unused:UNUSED_PAD src0_sel:BYTE_0 src1_sel:DWORD
	v_mul_u32_u24_sdwa v30, v36, s2 dst_sel:DWORD dst_unused:UNUSED_PAD src0_sel:WORD_0 src1_sel:DWORD
	v_lshrrev_b16_e32 v88, 10, v29
	v_lshrrev_b32_e32 v29, 18, v30
	v_mul_lo_u16_e32 v30, 5, v88
	v_mul_lo_u16_e32 v29, 5, v29
	v_sub_u16_e32 v39, v37, v30
	v_sub_u16_e32 v89, v36, v29
	v_lshlrev_b32_sdwa v27, v27, v39 dst_sel:DWORD dst_unused:UNUSED_PAD src0_sel:DWORD src1_sel:BYTE_0
	global_load_dwordx4 v[78:81], v27, s[8:9] offset:16
	global_load_dwordx4 v[82:85], v27, s[8:9]
	s_movk_i32 s5, 0x64
	s_waitcnt vmcnt(5)
	v_mul_f32_e32 v30, v60, v33
	s_waitcnt lgkmcnt(6)
	v_mul_f32_e32 v29, v17, v35
	v_mul_f32_e32 v31, v55, v35
	s_waitcnt vmcnt(4)
	v_mul_f32_e32 v35, v51, v69
	v_mul_f32_e32 v27, v24, v33
	v_fmac_f32_e32 v30, v24, v32
	v_fma_f32 v43, v55, v34, -v29
	v_fmac_f32_e32 v31, v17, v34
	s_waitcnt lgkmcnt(5)
	v_mul_f32_e32 v17, v22, v67
	v_mul_f32_e32 v34, v58, v67
	s_waitcnt lgkmcnt(3)
	v_mul_f32_e32 v24, v11, v69
	v_fmac_f32_e32 v35, v11, v68
	v_lshlrev_b32_e32 v11, 5, v89
	v_fma_f32 v45, v58, v66, -v17
	v_fmac_f32_e32 v34, v22, v66
	v_fma_f32 v49, v51, v68, -v24
	s_waitcnt vmcnt(3)
	v_mul_f32_e32 v17, v25, v71
	global_load_dwordx4 v[66:69], v11, s[8:9]
	v_fma_f32 v44, v60, v32, -v27
	v_fma_f32 v32, v61, v70, -v17
	v_mov_b32_e32 v17, 2
	s_waitcnt lgkmcnt(1)
	v_mul_f32_e32 v27, v18, v73
	v_lshlrev_b32_sdwa v51, v17, v9 dst_sel:DWORD dst_unused:UNUSED_PAD src0_sel:DWORD src1_sel:BYTE_0
	s_waitcnt vmcnt(3)
	v_mul_f32_e32 v9, v23, v75
	v_mul_f32_e32 v22, v61, v71
	v_fma_f32 v33, v56, v72, -v27
	v_mul_f32_e32 v27, v59, v75
	v_fma_f32 v41, v59, v74, -v9
	global_load_dwordx4 v[58:61], v11, s[8:9] offset:16
	v_mul_f32_e32 v24, v56, v73
	s_waitcnt lgkmcnt(0)
	v_mul_f32_e32 v9, v14, v77
	v_fmac_f32_e32 v24, v18, v72
	v_fma_f32 v42, v52, v76, -v9
	s_waitcnt vmcnt(2)
	v_mul_f32_e32 v9, v54, v83
	v_mul_f32_e32 v18, v19, v85
	v_fmac_f32_e32 v22, v25, v70
	v_lshlrev_b32_sdwa v70, v17, v28 dst_sel:DWORD dst_unused:UNUSED_PAD src0_sel:DWORD src1_sel:BYTE_0
	v_lshlrev_b32_sdwa v71, v17, v39 dst_sel:DWORD dst_unused:UNUSED_PAD src0_sel:DWORD src1_sel:BYTE_0
	v_mul_f32_e32 v11, v16, v83
	v_mul_f32_e32 v17, v50, v79
	v_fmac_f32_e32 v9, v16, v82
	v_mul_f32_e32 v16, v53, v81
	v_fma_f32 v25, v57, v84, -v18
	v_fmac_f32_e32 v27, v23, v74
	v_fma_f32 v23, v54, v82, -v11
	v_mul_f32_e32 v29, v10, v79
	v_mul_f32_e32 v39, v15, v81
	v_fmac_f32_e32 v17, v10, v78
	v_fmac_f32_e32 v16, v15, v80
	v_mul_f32_e32 v28, v52, v77
	v_fmac_f32_e32 v28, v14, v76
	v_mul_f32_e32 v14, v57, v85
	v_fmac_f32_e32 v14, v19, v84
	v_fma_f32 v19, v50, v78, -v29
	v_fma_f32 v29, v53, v80, -v39
	v_sub_f32_e32 v39, v44, v43
	s_waitcnt vmcnt(0)
	s_barrier
	v_mul_f32_e32 v18, v13, v67
	v_mul_f32_e32 v11, v21, v67
	v_fma_f32 v15, v21, v66, -v18
	v_mul_f32_e32 v10, v8, v69
	v_add_f32_e32 v21, v64, v44
	v_fmac_f32_e32 v11, v13, v66
	v_fma_f32 v13, v48, v68, -v10
	v_mul_f32_e32 v10, v48, v69
	v_add_f32_e32 v21, v21, v43
	v_fmac_f32_e32 v10, v8, v68
	v_add_f32_e32 v21, v21, v45
	v_mul_f32_e32 v8, v1, v59
	v_fma_f32 v8, v0, v58, -v8
	v_mul_f32_e32 v0, v0, v59
	v_add_f32_e32 v50, v21, v49
	v_add_f32_e32 v21, v43, v45
	v_fmac_f32_e32 v0, v1, v58
	v_mul_f32_e32 v1, v38, v61
	v_fma_f32 v57, -0.5, v21, v64
	v_fma_f32 v18, v65, v60, -v1
	v_mul_f32_e32 v1, v65, v61
	v_sub_f32_e32 v21, v30, v35
	v_mov_b32_e32 v58, v57
	v_fmac_f32_e32 v1, v38, v60
	v_fmac_f32_e32 v58, 0x3f737871, v21
	v_sub_f32_e32 v38, v31, v34
	v_sub_f32_e32 v48, v49, v45
	v_fmac_f32_e32 v57, 0xbf737871, v21
	v_fmac_f32_e32 v58, 0x3f167918, v38
	v_add_f32_e32 v39, v39, v48
	v_fmac_f32_e32 v57, 0xbf167918, v38
	v_fmac_f32_e32 v58, 0x3e9e377a, v39
	;; [unrolled: 1-line block ×3, first 2 shown]
	v_add_f32_e32 v39, v44, v49
	v_fmac_f32_e32 v64, -0.5, v39
	v_mov_b32_e32 v59, v64
	v_fmac_f32_e32 v59, 0xbf737871, v38
	v_fmac_f32_e32 v64, 0x3f737871, v38
	;; [unrolled: 1-line block ×4, first 2 shown]
	v_add_f32_e32 v21, v46, v32
	v_add_f32_e32 v21, v21, v33
	;; [unrolled: 1-line block ×5, first 2 shown]
	v_sub_f32_e32 v39, v43, v44
	v_sub_f32_e32 v48, v45, v49
	v_fma_f32 v61, -0.5, v21, v46
	v_add_f32_e32 v39, v39, v48
	v_sub_f32_e32 v21, v22, v28
	v_mov_b32_e32 v65, v61
	v_fmac_f32_e32 v59, 0x3e9e377a, v39
	v_fmac_f32_e32 v64, 0x3e9e377a, v39
	;; [unrolled: 1-line block ×3, first 2 shown]
	v_sub_f32_e32 v38, v24, v27
	v_sub_f32_e32 v39, v32, v33
	;; [unrolled: 1-line block ×3, first 2 shown]
	v_fmac_f32_e32 v61, 0xbf737871, v21
	v_fmac_f32_e32 v65, 0x3f167918, v38
	v_add_f32_e32 v39, v39, v48
	v_fmac_f32_e32 v61, 0xbf167918, v38
	v_fmac_f32_e32 v65, 0x3e9e377a, v39
	;; [unrolled: 1-line block ×3, first 2 shown]
	v_add_f32_e32 v39, v32, v42
	v_fma_f32 v46, -0.5, v39, v46
	v_mov_b32_e32 v66, v46
	v_fmac_f32_e32 v66, 0xbf737871, v38
	v_fmac_f32_e32 v46, 0x3f737871, v38
	;; [unrolled: 1-line block ×4, first 2 shown]
	v_add_f32_e32 v21, v47, v23
	v_add_f32_e32 v21, v21, v25
	;; [unrolled: 1-line block ×5, first 2 shown]
	v_sub_f32_e32 v39, v33, v32
	v_sub_f32_e32 v48, v41, v42
	v_fma_f32 v68, -0.5, v21, v47
	v_add_f32_e32 v39, v39, v48
	v_sub_f32_e32 v21, v9, v16
	v_mov_b32_e32 v69, v68
	v_fmac_f32_e32 v66, 0x3e9e377a, v39
	v_fmac_f32_e32 v46, 0x3e9e377a, v39
	v_fmac_f32_e32 v69, 0x3f737871, v21
	v_sub_f32_e32 v38, v14, v17
	v_sub_f32_e32 v39, v23, v25
	;; [unrolled: 1-line block ×3, first 2 shown]
	v_fmac_f32_e32 v68, 0xbf737871, v21
	v_fmac_f32_e32 v69, 0x3f167918, v38
	v_add_f32_e32 v39, v39, v48
	v_fmac_f32_e32 v68, 0xbf167918, v38
	v_fmac_f32_e32 v69, 0x3e9e377a, v39
	;; [unrolled: 1-line block ×3, first 2 shown]
	v_add_f32_e32 v39, v23, v29
	v_fmac_f32_e32 v47, -0.5, v39
	v_mov_b32_e32 v72, v47
	v_fmac_f32_e32 v72, 0xbf737871, v38
	v_sub_f32_e32 v39, v25, v23
	v_sub_f32_e32 v48, v19, v29
	v_fmac_f32_e32 v47, 0x3f737871, v38
	v_fmac_f32_e32 v72, 0x3f167918, v21
	v_add_f32_e32 v39, v39, v48
	v_fmac_f32_e32 v47, 0xbf167918, v21
	v_fmac_f32_e32 v72, 0x3e9e377a, v39
	;; [unrolled: 1-line block ×3, first 2 shown]
	v_sub_f32_e32 v39, v15, v13
	v_sub_f32_e32 v48, v18, v8
	v_add_f32_e32 v55, v39, v48
	v_sub_f32_e32 v48, v13, v15
	v_sub_f32_e32 v56, v8, v18
	v_add_f32_e32 v21, v13, v8
	v_add_f32_e32 v39, v15, v18
	;; [unrolled: 1-line block ×3, first 2 shown]
	v_mad_u32_u24 v48, v86, s5, 0
	v_fma_f32 v21, -0.5, v21, v20
	v_fma_f32 v54, -0.5, v39, v20
	v_add3_u32 v48, v48, v51, v5
	v_sub_f32_e32 v52, v11, v1
	v_mov_b32_e32 v38, v21
	v_sub_f32_e32 v53, v10, v0
	v_mov_b32_e32 v39, v54
	ds_write2_b32 v48, v50, v58 offset1:5
	ds_write2_b32 v48, v59, v64 offset0:10 offset1:15
	ds_write_b32 v48, v57 offset:80
	v_mad_u32_u24 v50, v87, s5, 0
	v_fmac_f32_e32 v38, 0x3f737871, v52
	v_fmac_f32_e32 v39, 0xbf737871, v53
	v_add3_u32 v50, v50, v70, v5
	v_fmac_f32_e32 v38, 0x3f167918, v53
	v_fmac_f32_e32 v39, 0x3f167918, v52
	ds_write2_b32 v50, v60, v65 offset1:5
	ds_write2_b32 v50, v66, v46 offset0:10 offset1:15
	ds_write_b32 v50, v61 offset:80
	v_mad_u32_u24 v46, v88, s5, 0
	v_fmac_f32_e32 v38, 0x3e9e377a, v55
	v_fmac_f32_e32 v39, 0x3e9e377a, v56
	v_add3_u32 v51, v46, v71, v5
	v_lshlrev_b32_e32 v46, 2, v89
	ds_write2_b32 v51, v67, v69 offset1:5
	ds_write2_b32 v51, v72, v47 offset0:10 offset1:15
	ds_write_b32 v51, v68 offset:80
	s_and_saveexec_b64 s[2:3], vcc
	s_cbranch_execz .LBB0_22
; %bb.21:
	v_mul_f32_e32 v47, 0x3f737871, v52
	v_sub_f32_e32 v21, v21, v47
	v_add_f32_e32 v20, v20, v15
	v_mul_lo_u16_sdwa v47, v36, s4 dst_sel:DWORD dst_unused:UNUSED_PAD src0_sel:BYTE_0 src1_sel:DWORD
	v_mul_f32_e32 v57, 0x3f167918, v53
	v_mul_f32_e32 v53, 0x3f737871, v53
	v_add_f32_e32 v20, v20, v13
	v_lshrrev_b16_e32 v47, 10, v47
	v_mul_f32_e32 v52, 0x3f167918, v52
	v_add_f32_e32 v53, v53, v54
	v_add_f32_e32 v20, v20, v8
	v_mad_u32_u24 v47, v47, s5, 0
	v_mul_f32_e32 v55, 0x3e9e377a, v55
	v_mul_f32_e32 v56, 0x3e9e377a, v56
	v_sub_f32_e32 v52, v53, v52
	v_sub_f32_e32 v21, v21, v57
	v_add_f32_e32 v20, v20, v18
	v_add3_u32 v47, v47, v46, v5
	v_add_f32_e32 v52, v56, v52
	v_add_f32_e32 v21, v55, v21
	ds_write2_b32 v47, v20, v38 offset1:5
	ds_write2_b32 v47, v39, v52 offset0:10 offset1:15
	ds_write_b32 v47, v21 offset:80
.LBB0_22:
	s_or_b64 exec, exec, s[2:3]
	v_add_f32_e32 v20, v26, v30
	v_add_f32_e32 v20, v20, v31
	;; [unrolled: 1-line block ×5, first 2 shown]
	v_fma_f32 v52, -0.5, v20, v26
	v_sub_f32_e32 v20, v44, v49
	v_mov_b32_e32 v49, v52
	v_fmac_f32_e32 v49, 0xbf737871, v20
	v_sub_f32_e32 v21, v43, v45
	v_sub_f32_e32 v43, v30, v31
	v_sub_f32_e32 v44, v35, v34
	v_fmac_f32_e32 v52, 0x3f737871, v20
	v_fmac_f32_e32 v49, 0xbf167918, v21
	v_add_f32_e32 v43, v43, v44
	v_fmac_f32_e32 v52, 0x3f167918, v21
	v_fmac_f32_e32 v49, 0x3e9e377a, v43
	v_fmac_f32_e32 v52, 0x3e9e377a, v43
	v_add_f32_e32 v43, v30, v35
	v_fmac_f32_e32 v26, -0.5, v43
	v_mov_b32_e32 v45, v26
	v_fmac_f32_e32 v45, 0x3f737871, v21
	v_fmac_f32_e32 v26, 0xbf737871, v21
	;; [unrolled: 1-line block ×4, first 2 shown]
	v_add_f32_e32 v20, v2, v22
	v_add_f32_e32 v20, v20, v24
	;; [unrolled: 1-line block ×5, first 2 shown]
	v_sub_f32_e32 v30, v31, v30
	v_sub_f32_e32 v31, v34, v35
	v_fma_f32 v54, -0.5, v20, v2
	v_add_f32_e32 v30, v30, v31
	v_sub_f32_e32 v20, v32, v42
	v_mov_b32_e32 v55, v54
	v_fmac_f32_e32 v45, 0x3e9e377a, v30
	v_fmac_f32_e32 v26, 0x3e9e377a, v30
	;; [unrolled: 1-line block ×3, first 2 shown]
	v_sub_f32_e32 v21, v33, v41
	v_sub_f32_e32 v30, v22, v24
	;; [unrolled: 1-line block ×3, first 2 shown]
	v_fmac_f32_e32 v54, 0x3f737871, v20
	v_fmac_f32_e32 v55, 0xbf167918, v21
	v_add_f32_e32 v30, v30, v31
	v_fmac_f32_e32 v54, 0x3f167918, v21
	v_fmac_f32_e32 v55, 0x3e9e377a, v30
	;; [unrolled: 1-line block ×3, first 2 shown]
	v_add_f32_e32 v30, v22, v28
	v_fma_f32 v56, -0.5, v30, v2
	v_mov_b32_e32 v57, v56
	v_fmac_f32_e32 v57, 0x3f737871, v21
	v_sub_f32_e32 v2, v24, v22
	v_sub_f32_e32 v22, v27, v28
	v_fmac_f32_e32 v56, 0xbf737871, v21
	v_fmac_f32_e32 v57, 0xbf167918, v20
	v_add_f32_e32 v2, v2, v22
	v_fmac_f32_e32 v56, 0x3f167918, v20
	v_fmac_f32_e32 v57, 0x3e9e377a, v2
	v_fmac_f32_e32 v56, 0x3e9e377a, v2
	v_add_f32_e32 v2, v3, v9
	v_add_f32_e32 v2, v2, v14
	;; [unrolled: 1-line block ×5, first 2 shown]
	v_fma_f32 v59, -0.5, v2, v3
	v_sub_f32_e32 v2, v23, v29
	v_mov_b32_e32 v60, v59
	v_fmac_f32_e32 v60, 0xbf737871, v2
	v_sub_f32_e32 v19, v25, v19
	v_sub_f32_e32 v20, v9, v14
	;; [unrolled: 1-line block ×3, first 2 shown]
	v_fmac_f32_e32 v59, 0x3f737871, v2
	v_fmac_f32_e32 v60, 0xbf167918, v19
	v_add_f32_e32 v20, v20, v21
	v_fmac_f32_e32 v59, 0x3f167918, v19
	v_fmac_f32_e32 v60, 0x3e9e377a, v20
	;; [unrolled: 1-line block ×3, first 2 shown]
	v_add_f32_e32 v20, v9, v16
	v_fmac_f32_e32 v3, -0.5, v20
	v_mov_b32_e32 v61, v3
	v_fmac_f32_e32 v61, 0x3f737871, v19
	v_sub_f32_e32 v9, v14, v9
	v_sub_f32_e32 v14, v17, v16
	v_fmac_f32_e32 v3, 0xbf737871, v19
	v_fmac_f32_e32 v61, 0xbf167918, v2
	v_add_f32_e32 v9, v9, v14
	v_fmac_f32_e32 v3, 0x3f167918, v2
	v_fmac_f32_e32 v61, 0x3e9e377a, v9
	v_fmac_f32_e32 v3, 0x3e9e377a, v9
	v_sub_f32_e32 v35, v13, v8
	v_sub_f32_e32 v8, v11, v10
	;; [unrolled: 1-line block ×3, first 2 shown]
	v_add_f32_e32 v43, v8, v9
	v_add_f32_e32 v8, v11, v1
	v_fma_f32 v33, -0.5, v8, v12
	v_sub_f32_e32 v8, v10, v11
	v_sub_f32_e32 v9, v0, v1
	v_add_u32_e32 v25, 0x200, v62
	v_add_u32_e32 v28, 0x400, v62
	;; [unrolled: 1-line block ×5, first 2 shown]
	v_add_f32_e32 v2, v10, v0
	v_sub_f32_e32 v30, v15, v18
	v_add_f32_e32 v44, v8, v9
	s_waitcnt lgkmcnt(0)
	s_barrier
	ds_read2_b32 v[23:24], v62 offset0:75 offset1:150
	ds_read2_b32 v[21:22], v25 offset0:97 offset1:172
	;; [unrolled: 1-line block ×7, first 2 shown]
	ds_read_b32 v31, v63
	ds_read_b32 v32, v62 offset:4500
	v_fma_f32 v2, -0.5, v2, v12
	v_mov_b32_e32 v41, v2
	v_mov_b32_e32 v42, v33
	v_fmac_f32_e32 v41, 0xbf737871, v30
	v_fmac_f32_e32 v42, 0x3f737871, v35
	v_fmac_f32_e32 v41, 0xbf167918, v35
	v_fmac_f32_e32 v42, 0xbf167918, v30
	v_fmac_f32_e32 v41, 0x3e9e377a, v43
	v_fmac_f32_e32 v42, 0x3e9e377a, v44
	s_waitcnt lgkmcnt(0)
	s_barrier
	ds_write2_b32 v48, v47, v49 offset1:5
	ds_write2_b32 v48, v45, v26 offset0:10 offset1:15
	ds_write_b32 v48, v52 offset:80
	ds_write2_b32 v50, v53, v55 offset1:5
	ds_write2_b32 v50, v57, v56 offset0:10 offset1:15
	ds_write_b32 v50, v54 offset:80
	;; [unrolled: 3-line block ×3, first 2 shown]
	s_and_saveexec_b64 s[2:3], vcc
	s_cbranch_execz .LBB0_24
; %bb.23:
	v_add_f32_e32 v11, v12, v11
	v_add_f32_e32 v10, v11, v10
	v_mul_f32_e32 v3, 0x3f737871, v30
	v_add_f32_e32 v0, v10, v0
	v_add_f32_e32 v0, v0, v1
	;; [unrolled: 1-line block ×3, first 2 shown]
	v_mul_lo_u16_sdwa v3, v36, s4 dst_sel:DWORD dst_unused:UNUSED_PAD src0_sel:BYTE_0 src1_sel:DWORD
	v_mul_f32_e32 v26, 0x3f167918, v35
	v_mul_f32_e32 v35, 0x3f737871, v35
	v_lshrrev_b16_e32 v3, 10, v3
	s_movk_i32 s4, 0x64
	v_mul_f32_e32 v30, 0x3f167918, v30
	v_sub_f32_e32 v2, v33, v35
	v_mad_u32_u24 v3, v3, s4, 0
	v_mul_f32_e32 v43, 0x3e9e377a, v43
	v_mul_f32_e32 v44, 0x3e9e377a, v44
	v_add_f32_e32 v1, v26, v1
	v_add_f32_e32 v2, v30, v2
	v_add3_u32 v3, v3, v46, v5
	v_add_f32_e32 v1, v43, v1
	v_add_f32_e32 v2, v44, v2
	ds_write2_b32 v3, v0, v41 offset1:5
	ds_write2_b32 v3, v42, v2 offset0:10 offset1:15
	ds_write_b32 v3, v1 offset:80
.LBB0_24:
	s_or_b64 exec, exec, s[2:3]
	v_mov_b32_e32 v0, 41
	v_mul_lo_u16_sdwa v0, v4, v0 dst_sel:DWORD dst_unused:UNUSED_PAD src0_sel:BYTE_0 src1_sel:DWORD
	v_lshrrev_b16_e32 v61, 10, v0
	v_mul_lo_u16_e32 v0, 25, v61
	v_sub_u16_e32 v68, v4, v0
	v_mov_b32_e32 v0, 15
	v_mul_u32_u24_sdwa v0, v68, v0 dst_sel:DWORD dst_unused:UNUSED_PAD src0_sel:BYTE_0 src1_sel:DWORD
	v_lshlrev_b32_e32 v35, 3, v0
	s_waitcnt lgkmcnt(0)
	s_barrier
	ds_read_b32 v26, v63
	ds_read2_b32 v[55:56], v62 offset0:75 offset1:150
	ds_read2_b32 v[57:58], v25 offset0:97 offset1:172
	;; [unrolled: 1-line block ×7, first 2 shown]
	ds_read_b32 v12, v62 offset:4500
	global_load_dwordx4 v[0:3], v35, s[8:9] offset:208
	global_load_dwordx4 v[43:46], v35, s[8:9] offset:192
	;; [unrolled: 1-line block ×4, first 2 shown]
	s_movk_i32 s2, 0x640
	s_waitcnt vmcnt(0) lgkmcnt(7)
	v_mul_f32_e32 v30, v55, v52
	v_fma_f32 v69, v23, v51, -v30
	v_mul_f32_e32 v23, v23, v52
	v_mul_f32_e32 v30, v56, v54
	v_fmac_f32_e32 v23, v55, v51
	v_fma_f32 v51, v24, v53, -v30
	v_mul_f32_e32 v24, v24, v54
	s_waitcnt lgkmcnt(6)
	v_mul_f32_e32 v30, v57, v48
	v_fmac_f32_e32 v24, v56, v53
	v_fma_f32 v52, v21, v47, -v30
	v_mul_f32_e32 v53, v21, v48
	v_mul_f32_e32 v21, v58, v50
	v_fma_f32 v54, v22, v49, -v21
	v_mul_f32_e32 v30, v22, v50
	s_waitcnt lgkmcnt(5)
	v_mul_f32_e32 v21, v59, v44
	v_fmac_f32_e32 v30, v58, v49
	v_fma_f32 v55, v19, v43, -v21
	v_mul_f32_e32 v56, v19, v44
	v_mul_f32_e32 v19, v60, v46
	;; [unrolled: 1-line block ×3, first 2 shown]
	v_fmac_f32_e32 v53, v57, v47
	v_fma_f32 v57, v20, v45, -v19
	v_fmac_f32_e32 v58, v60, v45
	s_waitcnt lgkmcnt(4)
	v_mul_f32_e32 v19, v10, v1
	v_mul_f32_e32 v60, v8, v1
	v_fmac_f32_e32 v56, v59, v43
	v_fma_f32 v59, v8, v0, -v19
	v_fmac_f32_e32 v60, v10, v0
	v_mul_f32_e32 v0, v11, v3
	v_fma_f32 v8, v9, v2, -v0
	global_load_dwordx2 v[0:1], v35, s[8:9] offset:272
	global_load_dwordx4 v[19:22], v35, s[8:9] offset:256
	global_load_dwordx4 v[43:46], v35, s[8:9] offset:240
	;; [unrolled: 1-line block ×3, first 2 shown]
	s_waitcnt vmcnt(0) lgkmcnt(0)
	s_barrier
	v_mul_f32_e32 v10, v64, v48
	v_fma_f32 v35, v17, v47, -v10
	v_mul_f32_e32 v17, v17, v48
	v_fmac_f32_e32 v17, v64, v47
	v_mul_f32_e32 v47, v66, v44
	v_fma_f32 v47, v15, v43, -v47
	v_mul_f32_e32 v15, v15, v44
	v_mul_f32_e32 v44, v33, v20
	v_fma_f32 v44, v13, v19, -v44
	v_mul_f32_e32 v13, v13, v20
	v_mul_f32_e32 v10, v65, v50
	v_fmac_f32_e32 v13, v33, v19
	v_mul_f32_e32 v19, v34, v22
	v_fma_f32 v10, v18, v49, -v10
	v_mul_f32_e32 v18, v18, v50
	v_fmac_f32_e32 v15, v66, v43
	v_mul_f32_e32 v43, v67, v46
	v_fma_f32 v19, v14, v21, -v19
	v_mul_f32_e32 v14, v14, v22
	v_mul_f32_e32 v20, v12, v1
	v_fmac_f32_e32 v18, v65, v49
	v_fma_f32 v43, v16, v45, -v43
	v_fmac_f32_e32 v14, v34, v21
	v_fma_f32 v20, v32, v0, -v20
	v_mul_f32_e32 v21, v32, v1
	v_mul_f32_e32 v16, v16, v46
	v_fmac_f32_e32 v21, v12, v0
	v_sub_f32_e32 v1, v54, v43
	v_sub_f32_e32 v22, v51, v10
	;; [unrolled: 1-line block ×10, first 2 shown]
	v_fmac_f32_e32 v16, v67, v45
	v_sub_f32_e32 v0, v31, v8
	v_fma_f32 v32, v51, 2.0, -v22
	v_fma_f32 v10, v24, 2.0, -v18
	v_fma_f32 v24, v57, 2.0, -v19
	v_fma_f32 v35, v69, 2.0, -v34
	v_fma_f32 v23, v23, 2.0, -v17
	v_fma_f32 v44, v55, 2.0, -v43
	v_fma_f32 v45, v56, 2.0, -v13
	v_sub_f32_e32 v15, v53, v15
	v_fma_f32 v47, v52, 2.0, -v46
	v_sub_f32_e32 v21, v60, v21
	v_fma_f32 v49, v59, 2.0, -v20
	v_fma_f32 v12, v31, 2.0, -v0
	;; [unrolled: 1-line block ×4, first 2 shown]
	v_sub_f32_e32 v31, v32, v24
	v_sub_f32_e32 v44, v35, v44
	;; [unrolled: 1-line block ×6, first 2 shown]
	v_fma_f32 v16, v54, 2.0, -v1
	v_fma_f32 v24, v32, 2.0, -v31
	;; [unrolled: 1-line block ×4, first 2 shown]
	v_add_f32_e32 v23, v17, v43
	v_fma_f32 v54, v34, 2.0, -v13
	v_sub_f32_e32 v56, v48, v50
	v_fma_f32 v34, v47, 2.0, -v55
	v_sub_f32_e32 v21, v46, v21
	v_sub_f32_e32 v14, v58, v14
	;; [unrolled: 1-line block ×3, first 2 shown]
	v_fma_f32 v17, v17, 2.0, -v23
	v_fma_f32 v43, v48, 2.0, -v56
	v_add_f32_e32 v20, v15, v20
	v_fma_f32 v46, v46, 2.0, -v21
	v_sub_f32_e32 v35, v52, v34
	v_mov_b32_e32 v34, v54
	v_fma_f32 v33, v58, 2.0, -v14
	v_fma_f32 v0, v0, 2.0, -v51
	v_sub_f32_e32 v14, v22, v14
	v_fma_f32 v15, v15, 2.0, -v20
	v_sub_f32_e32 v50, v32, v43
	v_fmac_f32_e32 v34, 0xbf3504f3, v46
	v_mov_b32_e32 v43, v17
	v_sub_f32_e32 v16, v12, v16
	v_add_f32_e32 v19, v18, v19
	v_fma_f32 v22, v22, 2.0, -v14
	v_mov_b32_e32 v57, v0
	v_fmac_f32_e32 v43, 0xbf3504f3, v15
	v_fmac_f32_e32 v34, 0xbf3504f3, v15
	v_sub_f32_e32 v15, v44, v56
	v_fma_f32 v12, v12, 2.0, -v16
	v_fma_f32 v18, v18, 2.0, -v19
	v_mul_f32_e32 v45, 0x3f3504f3, v22
	v_fmac_f32_e32 v57, 0xbf3504f3, v22
	v_mov_b32_e32 v22, v51
	v_fma_f32 v58, v44, 2.0, -v15
	v_mov_b32_e32 v44, v13
	v_sub_f32_e32 v24, v12, v24
	v_fmac_f32_e32 v57, 0xbf3504f3, v18
	v_fmac_f32_e32 v22, 0x3f3504f3, v14
	;; [unrolled: 1-line block ×4, first 2 shown]
	v_fma_f32 v12, v12, 2.0, -v24
	v_fma_f32 v0, v0, 2.0, -v57
	v_mul_f32_e32 v49, 0x3f3504f3, v19
	v_fmac_f32_e32 v22, 0xbf3504f3, v19
	v_fma_f32 v19, v52, 2.0, -v35
	v_fma_f32 v52, v17, 2.0, -v43
	v_add_f32_e32 v17, v53, v55
	v_fmac_f32_e32 v44, 0xbf3504f3, v20
	v_mul_f32_e32 v48, 0x3f3504f3, v14
	v_fma_f32 v14, v51, 2.0, -v22
	v_fma_f32 v51, v54, 2.0, -v34
	v_fma_f32 v59, v53, 2.0, -v17
	v_fma_f32 v53, v13, 2.0, -v44
	v_sub_f32_e32 v13, v12, v19
	v_mov_b32_e32 v19, v0
	v_fmac_f32_e32 v19, 0xbf6c835e, v51
	v_sub_f32_e32 v33, v10, v33
	v_mov_b32_e32 v46, v23
	v_fmac_f32_e32 v19, 0xbec3ef15, v52
	v_mul_f32_e32 v47, 0x3f3504f3, v18
	v_sub_f32_e32 v18, v16, v33
	v_fmac_f32_e32 v46, 0x3f3504f3, v20
	v_fma_f32 v20, v0, 2.0, -v19
	v_mov_b32_e32 v0, v22
	v_fma_f32 v16, v16, 2.0, -v18
	v_fmac_f32_e32 v46, 0x3f3504f3, v21
	v_mov_b32_e32 v64, v57
	v_mov_b32_e32 v66, v18
	v_fmac_f32_e32 v0, 0x3f6c835e, v44
	v_mov_b32_e32 v21, v16
	v_fmac_f32_e32 v64, 0x3ec3ef15, v34
	v_fmac_f32_e32 v66, 0x3f3504f3, v15
	;; [unrolled: 1-line block ×3, first 2 shown]
	v_mul_f32_e32 v55, 0x3f3504f3, v58
	v_fmac_f32_e32 v21, 0xbf3504f3, v58
	v_fmac_f32_e32 v64, 0xbf6c835e, v43
	v_mul_f32_e32 v58, 0x3f3504f3, v17
	v_fmac_f32_e32 v66, 0xbf3504f3, v17
	v_fma_f32 v17, v22, 2.0, -v0
	v_mov_b32_e32 v22, 2
	v_fma_f32 v54, v23, 2.0, -v46
	v_mov_b32_e32 v23, v14
	v_fma_f32 v65, v57, 2.0, -v64
	v_mul_f32_e32 v57, 0x3f3504f3, v15
	v_fma_f32 v15, v18, 2.0, -v66
	v_mad_u32_u24 v18, v61, s2, 0
	v_lshlrev_b32_sdwa v22, v22, v68 dst_sel:DWORD dst_unused:UNUSED_PAD src0_sel:DWORD src1_sel:BYTE_0
	v_mul_f32_e32 v56, 0x3f3504f3, v59
	v_fmac_f32_e32 v21, 0xbf3504f3, v59
	v_fmac_f32_e32 v23, 0xbec3ef15, v53
	v_add3_u32 v59, v18, v22, v5
	v_fma_f32 v12, v12, 2.0, -v13
	v_fmac_f32_e32 v23, 0xbf6c835e, v54
	v_sub_f32_e32 v60, v24, v50
	v_add_u32_e32 v5, 0x200, v59
	v_fma_f32 v16, v16, 2.0, -v21
	v_fma_f32 v14, v14, 2.0, -v23
	;; [unrolled: 1-line block ×3, first 2 shown]
	ds_write2_b32 v59, v12, v20 offset1:25
	ds_write2_b32 v59, v16, v14 offset0:50 offset1:75
	ds_write2_b32 v59, v24, v65 offset0:100 offset1:125
	ds_write2_b32 v59, v15, v17 offset0:150 offset1:175
	ds_write2_b32 v59, v13, v19 offset0:200 offset1:225
	ds_write2_b32 v5, v21, v23 offset0:122 offset1:147
	v_add_u32_e32 v5, 0x400, v59
	ds_write2_b32 v5, v60, v64 offset0:44 offset1:69
	ds_write2_b32 v5, v66, v0 offset0:94 offset1:119
	s_waitcnt lgkmcnt(0)
	s_barrier
	ds_read_b32 v5, v63
	ds_read2_b32 v[14:15], v28 offset0:144 offset1:219
	v_add_u32_e32 v28, 0xa00, v62
	ds_read2_b32 v[12:13], v28 offset0:60 offset1:160
	ds_read2_b32 v[16:17], v62 offset0:75 offset1:150
	;; [unrolled: 1-line block ×5, first 2 shown]
	v_add_u32_e32 v60, 0x1000, v62
	ds_read2_b32 v[24:25], v60 offset0:1 offset1:76
	v_cmp_gt_u32_e64 s[2:3], 25, v4
	s_and_saveexec_b64 s[4:5], s[2:3]
	s_cbranch_execz .LBB0_26
; %bb.25:
	ds_read_b32 v0, v62 offset:1500
	ds_read_b32 v38, v62 offset:3100
	;; [unrolled: 1-line block ×3, first 2 shown]
.LBB0_26:
	s_or_b64 exec, exec, s[4:5]
	v_mul_f32_e32 v3, v9, v3
	v_fmac_f32_e32 v3, v11, v2
	v_sub_f32_e32 v2, v26, v3
	v_add_f32_e32 v1, v2, v1
	v_fma_f32 v3, v26, 2.0, -v2
	v_add_f32_e32 v26, v1, v49
	v_fma_f32 v8, v30, 2.0, -v8
	v_add_f32_e32 v26, v48, v26
	v_sub_f32_e32 v8, v3, v8
	v_fma_f32 v2, v2, 2.0, -v1
	v_fma_f32 v1, v1, 2.0, -v26
	;; [unrolled: 1-line block ×4, first 2 shown]
	v_sub_f32_e32 v10, v2, v47
	v_add_f32_e32 v11, v8, v31
	v_mov_b32_e32 v31, v1
	v_sub_f32_e32 v9, v3, v9
	v_add_f32_e32 v10, v45, v10
	v_fmac_f32_e32 v31, 0xbec3ef15, v54
	v_fma_f32 v2, v2, 2.0, -v10
	v_fmac_f32_e32 v31, 0x3f6c835e, v53
	v_add_f32_e32 v33, v9, v35
	v_mov_b32_e32 v35, v10
	v_fma_f32 v27, v32, 2.0, -v50
	v_mov_b32_e32 v29, v2
	v_fma_f32 v32, v1, 2.0, -v31
	v_fmac_f32_e32 v35, 0x3ec3ef15, v43
	v_add_f32_e32 v1, v11, v58
	v_fma_f32 v3, v3, 2.0, -v9
	v_fma_f32 v8, v8, 2.0, -v11
	v_fmac_f32_e32 v29, 0xbf6c835e, v52
	v_fmac_f32_e32 v35, 0x3f6c835e, v34
	v_add_f32_e32 v34, v57, v1
	v_mov_b32_e32 v1, v26
	v_sub_f32_e32 v27, v3, v27
	v_fmac_f32_e32 v29, 0x3ec3ef15, v51
	v_sub_f32_e32 v30, v8, v56
	v_fmac_f32_e32 v1, 0x3f6c835e, v46
	v_fma_f32 v3, v3, 2.0, -v27
	v_fma_f32 v2, v2, 2.0, -v29
	v_add_f32_e32 v30, v55, v30
	v_fmac_f32_e32 v1, 0x3ec3ef15, v44
	v_fma_f32 v8, v8, 2.0, -v30
	v_fma_f32 v9, v9, 2.0, -v33
	;; [unrolled: 1-line block ×5, first 2 shown]
	s_waitcnt lgkmcnt(0)
	s_barrier
	ds_write2_b32 v59, v3, v2 offset1:25
	ds_write2_b32 v59, v8, v32 offset0:50 offset1:75
	ds_write2_b32 v59, v9, v10 offset0:100 offset1:125
	;; [unrolled: 1-line block ×4, first 2 shown]
	v_add_u32_e32 v2, 0x200, v59
	ds_write2_b32 v2, v30, v31 offset0:122 offset1:147
	v_add_u32_e32 v2, 0x400, v59
	ds_write2_b32 v2, v33, v35 offset0:44 offset1:69
	ds_write2_b32 v2, v34, v1 offset0:94 offset1:119
	v_add_u32_e32 v2, 0x400, v62
	s_waitcnt lgkmcnt(0)
	s_barrier
	ds_read_b32 v43, v63
	ds_read2_b32 v[10:11], v2 offset0:144 offset1:219
	ds_read2_b32 v[8:9], v28 offset0:60 offset1:160
	;; [unrolled: 1-line block ×3, first 2 shown]
	v_add_u32_e32 v2, 0xc00, v62
	ds_read2_b32 v[28:29], v2 offset0:107 offset1:182
	v_add_u32_e32 v2, 0x800, v62
	ds_read2_b32 v[30:31], v2 offset0:38 offset1:113
	;; [unrolled: 2-line block ×3, first 2 shown]
	ds_read2_b32 v[34:35], v60 offset0:1 offset1:76
	s_and_saveexec_b64 s[4:5], s[2:3]
	s_cbranch_execz .LBB0_28
; %bb.27:
	ds_read_b32 v1, v62 offset:1500
	ds_read_b32 v41, v62 offset:3100
	;; [unrolled: 1-line block ×3, first 2 shown]
.LBB0_28:
	s_or_b64 exec, exec, s[4:5]
	s_and_saveexec_b64 s[4:5], s[0:1]
	s_cbranch_execz .LBB0_31
; %bb.29:
	v_add_u32_e32 v64, 0x12c, v4
	v_lshlrev_b32_e32 v2, 1, v64
	v_mov_b32_e32 v3, 0
	v_lshlrev_b64 v[44:45], 3, v[2:3]
	v_lshlrev_b32_e32 v2, 1, v36
	v_mov_b32_e32 v62, s9
	v_add_co_u32_e32 v44, vcc, s8, v44
	v_lshlrev_b64 v[48:49], 3, v[2:3]
	v_addc_co_u32_e32 v45, vcc, v62, v45, vcc
	v_add_co_u32_e32 v48, vcc, s8, v48
	global_load_dwordx4 v[44:47], v[44:45], off offset:3160
	v_addc_co_u32_e32 v49, vcc, v62, v49, vcc
	global_load_dwordx4 v[48:51], v[48:49], off offset:3160
	v_lshlrev_b32_e32 v2, 1, v37
	v_lshlrev_b64 v[52:53], 3, v[2:3]
	v_lshlrev_b32_e32 v2, 1, v40
	v_add_co_u32_e32 v52, vcc, s8, v52
	v_addc_co_u32_e32 v53, vcc, v62, v53, vcc
	global_load_dwordx4 v[52:55], v[52:53], off offset:3160
	v_lshlrev_b64 v[56:57], 3, v[2:3]
	v_lshlrev_b32_e32 v2, 1, v4
	v_add_co_u32_e32 v56, vcc, s8, v56
	v_addc_co_u32_e32 v57, vcc, v62, v57, vcc
	global_load_dwordx4 v[56:59], v[56:57], off offset:3160
	v_lshlrev_b64 v[60:61], 3, v[2:3]
	s_mov_b32 s1, 0x51eb851f
	v_add_co_u32_e32 v60, vcc, s8, v60
	v_addc_co_u32_e32 v61, vcc, v62, v61, vcc
	global_load_dwordx4 v[60:63], v[60:61], off offset:3160
	s_movk_i32 s0, 0x1000
	s_movk_i32 s4, 0x4b0
	s_waitcnt vmcnt(4) lgkmcnt(5)
	v_mul_f32_e32 v2, v8, v45
	s_waitcnt lgkmcnt(0)
	v_mul_f32_e32 v40, v35, v47
	v_mul_f32_e32 v45, v12, v45
	v_mul_f32_e32 v47, v25, v47
	v_fma_f32 v2, v12, v44, -v2
	v_fma_f32 v12, v25, v46, -v40
	v_fmac_f32_e32 v45, v8, v44
	v_fmac_f32_e32 v47, v35, v46
	s_waitcnt vmcnt(3)
	v_mul_f32_e32 v35, v23, v49
	v_mul_f32_e32 v40, v24, v51
	;; [unrolled: 1-line block ×4, first 2 shown]
	v_sub_f32_e32 v46, v2, v12
	v_add_f32_e32 v44, v45, v47
	v_add_f32_e32 v49, v2, v12
	;; [unrolled: 1-line block ×3, first 2 shown]
	v_fmac_f32_e32 v35, v31, v48
	v_fmac_f32_e32 v40, v34, v50
	v_sub_f32_e32 v51, v45, v47
	v_add_f32_e32 v45, v33, v45
	v_fma_f32 v25, v24, v50, -v25
	v_fma_f32 v24, -0.5, v44, v33
	v_add_f32_e32 v33, v2, v12
	v_add_f32_e32 v12, v35, v40
	v_fma_f32 v8, v23, v48, -v8
	v_fma_f32 v23, -0.5, v49, v21
	v_sub_f32_e32 v49, v35, v40
	v_add_f32_e32 v35, v32, v35
	v_fma_f32 v32, -0.5, v12, v32
	v_add_f32_e32 v34, v45, v47
	v_sub_f32_e32 v2, v8, v25
	v_mov_b32_e32 v47, v32
	s_waitcnt vmcnt(2)
	v_mul_f32_e32 v50, v22, v53
	v_fmac_f32_e32 v32, 0xbf5db3d7, v2
	v_fmac_f32_e32 v47, 0x3f5db3d7, v2
	v_mul_f32_e32 v2, v19, v55
	v_fmac_f32_e32 v50, v30, v52
	v_fmac_f32_e32 v2, v29, v54
	v_mul_f32_e32 v31, v30, v53
	v_mul_f32_e32 v48, v29, v55
	v_add_f32_e32 v44, v8, v25
	v_add_f32_e32 v12, v50, v2
	;; [unrolled: 1-line block ×3, first 2 shown]
	v_fma_f32 v53, v22, v52, -v31
	v_fma_f32 v48, v19, v54, -v48
	v_fma_f32 v31, -0.5, v44, v20
	v_fma_f32 v20, -0.5, v12, v27
	v_mov_b32_e32 v22, v24
	v_add_f32_e32 v44, v8, v25
	v_sub_f32_e32 v8, v53, v48
	v_mov_b32_e32 v30, v20
	v_fmac_f32_e32 v24, 0xbf5db3d7, v46
	v_fmac_f32_e32 v22, 0x3f5db3d7, v46
	v_mov_b32_e32 v46, v31
	v_fmac_f32_e32 v30, 0x3f5db3d7, v8
	v_add_f32_e32 v12, v53, v48
	v_fmac_f32_e32 v20, 0xbf5db3d7, v8
	v_add_f32_e32 v8, v27, v50
	v_fmac_f32_e32 v31, 0x3f5db3d7, v49
	v_fmac_f32_e32 v46, 0xbf5db3d7, v49
	v_fma_f32 v19, -0.5, v12, v17
	v_sub_f32_e32 v12, v50, v2
	v_add_f32_e32 v49, v8, v2
	v_add_f32_e32 v2, v17, v53
	;; [unrolled: 1-line block ×3, first 2 shown]
	s_waitcnt vmcnt(1)
	v_mul_f32_e32 v2, v11, v57
	v_fma_f32 v2, v15, v56, -v2
	v_mul_f32_e32 v15, v15, v57
	v_mul_f32_e32 v27, v18, v59
	v_fmac_f32_e32 v15, v11, v56
	v_fmac_f32_e32 v27, v28, v58
	v_mov_b32_e32 v29, v19
	v_mul_f32_e32 v8, v28, v59
	v_add_f32_e32 v11, v15, v27
	v_fmac_f32_e32 v29, 0xbf5db3d7, v12
	v_fmac_f32_e32 v19, 0x3f5db3d7, v12
	v_fma_f32 v8, v18, v58, -v8
	v_fma_f32 v12, -0.5, v11, v26
	v_sub_f32_e32 v28, v15, v27
	v_add_f32_e32 v15, v26, v15
	v_sub_f32_e32 v25, v2, v8
	v_mov_b32_e32 v18, v12
	v_add_f32_e32 v11, v2, v8
	v_add_f32_e32 v26, v15, v27
	;; [unrolled: 1-line block ×3, first 2 shown]
	s_waitcnt vmcnt(0)
	v_mul_f32_e32 v27, v14, v61
	v_fmac_f32_e32 v18, 0x3f5db3d7, v25
	v_fmac_f32_e32 v12, 0xbf5db3d7, v25
	v_add_f32_e32 v25, v2, v8
	v_mul_f32_e32 v2, v10, v61
	v_fmac_f32_e32 v27, v10, v60
	v_mul_f32_e32 v10, v13, v63
	v_mul_f32_e32 v8, v9, v63
	v_fmac_f32_e32 v10, v9, v62
	v_fma_f32 v15, v13, v62, -v8
	v_add_f32_e32 v8, v27, v10
	v_fma_f32 v2, v14, v60, -v2
	v_fma_f32 v9, -0.5, v8, v43
	v_fma_f32 v11, -0.5, v11, v16
	v_sub_f32_e32 v16, v2, v15
	v_mov_b32_e32 v14, v9
	v_add_f32_e32 v8, v2, v15
	v_mov_b32_e32 v17, v11
	v_fmac_f32_e32 v14, 0x3f5db3d7, v16
	v_fma_f32 v8, -0.5, v8, v5
	v_fmac_f32_e32 v9, 0xbf5db3d7, v16
	v_add_f32_e32 v16, v43, v27
	v_add_f32_e32 v2, v5, v2
	v_mov_b32_e32 v5, v3
	v_fmac_f32_e32 v17, 0xbf5db3d7, v28
	v_fmac_f32_e32 v11, 0x3f5db3d7, v28
	v_sub_f32_e32 v28, v27, v10
	v_add_f32_e32 v16, v16, v10
	v_add_f32_e32 v15, v2, v15
	v_mov_b32_e32 v2, s13
	v_add_co_u32_e32 v10, vcc, s12, v6
	v_lshlrev_b64 v[5:6], 3, v[4:5]
	v_addc_co_u32_e32 v2, vcc, v2, v7, vcc
	v_add_co_u32_e32 v5, vcc, v10, v5
	v_addc_co_u32_e32 v6, vcc, v2, v6, vcc
	v_mul_hi_u32 v2, v37, s1
	v_mov_b32_e32 v13, v8
	v_fmac_f32_e32 v8, 0x3f5db3d7, v28
	v_add_co_u32_e32 v7, vcc, s0, v5
	v_lshrrev_b32_e32 v2, 7, v2
	v_fmac_f32_e32 v13, 0xbf5db3d7, v28
	global_store_dwordx2 v[5:6], v[15:16], off
	global_store_dwordx2 v[5:6], v[8:9], off offset:3200
	v_addc_co_u32_e32 v8, vcc, 0, v6, vcc
	v_mul_u32_u24_e32 v2, 0x320, v2
	global_store_dwordx2 v[7:8], v[13:14], off offset:2304
	global_store_dwordx2 v[5:6], v[25:26], off offset:600
	;; [unrolled: 1-line block ×4, first 2 shown]
	v_lshlrev_b64 v[7:8], 3, v[2:3]
	v_mul_hi_u32 v2, v36, s1
	v_add_co_u32_e32 v7, vcc, v5, v7
	v_addc_co_u32_e32 v8, vcc, v6, v8, vcc
	v_add_co_u32_e32 v9, vcc, s4, v7
	v_addc_co_u32_e32 v10, vcc, 0, v8, vcc
	global_store_dwordx2 v[7:8], v[48:49], off offset:1200
	global_store_dwordx2 v[9:10], v[19:20], off offset:3200
	v_add_co_u32_e32 v7, vcc, s0, v7
	v_lshrrev_b32_e32 v2, 7, v2
	v_addc_co_u32_e32 v8, vcc, 0, v8, vcc
	v_mul_u32_u24_e32 v2, 0x320, v2
	global_store_dwordx2 v[7:8], v[29:30], off offset:3504
	v_lshlrev_b64 v[7:8], 3, v[2:3]
	v_mul_hi_u32 v2, v64, s1
	v_add_co_u32_e32 v7, vcc, v5, v7
	v_addc_co_u32_e32 v8, vcc, v6, v8, vcc
	s_movk_i32 s0, 0x708
	v_add_co_u32_e32 v9, vcc, s0, v7
	v_add_f32_e32 v45, v35, v40
	v_addc_co_u32_e32 v10, vcc, 0, v8, vcc
	s_movk_i32 s0, 0x2000
	global_store_dwordx2 v[7:8], v[44:45], off offset:1800
	global_store_dwordx2 v[9:10], v[31:32], off offset:3200
	v_add_co_u32_e32 v7, vcc, s0, v7
	v_lshrrev_b32_e32 v2, 7, v2
	v_addc_co_u32_e32 v8, vcc, 0, v8, vcc
	v_mul_u32_u24_e32 v2, 0x320, v2
	global_store_dwordx2 v[7:8], v[46:47], off offset:8
	v_lshlrev_b64 v[7:8], 3, v[2:3]
	v_mov_b32_e32 v21, v23
	v_add_co_u32_e32 v7, vcc, v5, v7
	v_addc_co_u32_e32 v8, vcc, v6, v8, vcc
	v_add_co_u32_e32 v9, vcc, 0x960, v7
	v_addc_co_u32_e32 v10, vcc, 0, v8, vcc
	v_fmac_f32_e32 v23, 0x3f5db3d7, v51
	global_store_dwordx2 v[7:8], v[33:34], off offset:2400
	global_store_dwordx2 v[9:10], v[23:24], off offset:3200
	v_add_co_u32_e32 v7, vcc, 0x2000, v7
	v_fmac_f32_e32 v21, 0xbf5db3d7, v51
	v_addc_co_u32_e32 v8, vcc, 0, v8, vcc
	global_store_dwordx2 v[7:8], v[21:22], off offset:608
	s_and_b64 exec, exec, s[2:3]
	s_cbranch_execz .LBB0_31
; %bb.30:
	v_not_b32_e32 v2, 24
	v_mov_b32_e32 v7, 0x177
	v_cndmask_b32_e64 v2, v2, v7, s[2:3]
	v_add_lshl_u32 v2, v4, v2, 1
	v_lshlrev_b64 v[2:3], 3, v[2:3]
	v_mov_b32_e32 v4, s9
	v_add_co_u32_e32 v2, vcc, s8, v2
	v_addc_co_u32_e32 v3, vcc, v4, v3, vcc
	global_load_dwordx4 v[7:10], v[2:3], off offset:3160
	v_add_co_u32_e32 v2, vcc, 0x1000, v5
	v_addc_co_u32_e32 v3, vcc, 0, v6, vcc
	v_add_co_u32_e32 v11, vcc, 0x2000, v5
	v_addc_co_u32_e32 v12, vcc, 0, v6, vcc
	s_waitcnt vmcnt(0)
	v_mul_f32_e32 v4, v41, v8
	v_mul_f32_e32 v8, v38, v8
	;; [unrolled: 1-line block ×4, first 2 shown]
	v_fma_f32 v4, v38, v7, -v4
	v_fmac_f32_e32 v8, v41, v7
	v_fma_f32 v7, v39, v9, -v13
	v_fmac_f32_e32 v10, v42, v9
	v_add_f32_e32 v13, v4, v7
	v_add_f32_e32 v16, v8, v10
	;; [unrolled: 1-line block ×4, first 2 shown]
	v_fmac_f32_e32 v0, -0.5, v13
	v_fmac_f32_e32 v1, -0.5, v16
	v_sub_f32_e32 v14, v8, v10
	v_sub_f32_e32 v4, v4, v7
	v_add_f32_e32 v7, v9, v7
	v_add_f32_e32 v8, v15, v10
	v_mov_b32_e32 v9, v0
	v_mov_b32_e32 v10, v1
	v_fmac_f32_e32 v9, 0x3f5db3d7, v14
	v_fmac_f32_e32 v10, 0xbf5db3d7, v4
	;; [unrolled: 1-line block ×4, first 2 shown]
	global_store_dwordx2 v[5:6], v[7:8], off offset:3000
	global_store_dwordx2 v[2:3], v[9:10], off offset:2104
	;; [unrolled: 1-line block ×3, first 2 shown]
.LBB0_31:
	s_endpgm
	.section	.rodata,"a",@progbits
	.p2align	6, 0x0
	.amdhsa_kernel fft_rtc_fwd_len1200_factors_5_5_16_3_wgs_225_tpt_75_halfLds_sp_ip_CI_unitstride_sbrr_dirReg
		.amdhsa_group_segment_fixed_size 0
		.amdhsa_private_segment_fixed_size 0
		.amdhsa_kernarg_size 88
		.amdhsa_user_sgpr_count 6
		.amdhsa_user_sgpr_private_segment_buffer 1
		.amdhsa_user_sgpr_dispatch_ptr 0
		.amdhsa_user_sgpr_queue_ptr 0
		.amdhsa_user_sgpr_kernarg_segment_ptr 1
		.amdhsa_user_sgpr_dispatch_id 0
		.amdhsa_user_sgpr_flat_scratch_init 0
		.amdhsa_user_sgpr_private_segment_size 0
		.amdhsa_uses_dynamic_stack 0
		.amdhsa_system_sgpr_private_segment_wavefront_offset 0
		.amdhsa_system_sgpr_workgroup_id_x 1
		.amdhsa_system_sgpr_workgroup_id_y 0
		.amdhsa_system_sgpr_workgroup_id_z 0
		.amdhsa_system_sgpr_workgroup_info 0
		.amdhsa_system_vgpr_workitem_id 0
		.amdhsa_next_free_vgpr 90
		.amdhsa_next_free_sgpr 22
		.amdhsa_reserve_vcc 1
		.amdhsa_reserve_flat_scratch 0
		.amdhsa_float_round_mode_32 0
		.amdhsa_float_round_mode_16_64 0
		.amdhsa_float_denorm_mode_32 3
		.amdhsa_float_denorm_mode_16_64 3
		.amdhsa_dx10_clamp 1
		.amdhsa_ieee_mode 1
		.amdhsa_fp16_overflow 0
		.amdhsa_exception_fp_ieee_invalid_op 0
		.amdhsa_exception_fp_denorm_src 0
		.amdhsa_exception_fp_ieee_div_zero 0
		.amdhsa_exception_fp_ieee_overflow 0
		.amdhsa_exception_fp_ieee_underflow 0
		.amdhsa_exception_fp_ieee_inexact 0
		.amdhsa_exception_int_div_zero 0
	.end_amdhsa_kernel
	.text
.Lfunc_end0:
	.size	fft_rtc_fwd_len1200_factors_5_5_16_3_wgs_225_tpt_75_halfLds_sp_ip_CI_unitstride_sbrr_dirReg, .Lfunc_end0-fft_rtc_fwd_len1200_factors_5_5_16_3_wgs_225_tpt_75_halfLds_sp_ip_CI_unitstride_sbrr_dirReg
                                        ; -- End function
	.section	.AMDGPU.csdata,"",@progbits
; Kernel info:
; codeLenInByte = 9520
; NumSgprs: 26
; NumVgprs: 90
; ScratchSize: 0
; MemoryBound: 0
; FloatMode: 240
; IeeeMode: 1
; LDSByteSize: 0 bytes/workgroup (compile time only)
; SGPRBlocks: 3
; VGPRBlocks: 22
; NumSGPRsForWavesPerEU: 26
; NumVGPRsForWavesPerEU: 90
; Occupancy: 2
; WaveLimiterHint : 1
; COMPUTE_PGM_RSRC2:SCRATCH_EN: 0
; COMPUTE_PGM_RSRC2:USER_SGPR: 6
; COMPUTE_PGM_RSRC2:TRAP_HANDLER: 0
; COMPUTE_PGM_RSRC2:TGID_X_EN: 1
; COMPUTE_PGM_RSRC2:TGID_Y_EN: 0
; COMPUTE_PGM_RSRC2:TGID_Z_EN: 0
; COMPUTE_PGM_RSRC2:TIDIG_COMP_CNT: 0
	.type	__hip_cuid_e0d186b2edc462eb,@object ; @__hip_cuid_e0d186b2edc462eb
	.section	.bss,"aw",@nobits
	.globl	__hip_cuid_e0d186b2edc462eb
__hip_cuid_e0d186b2edc462eb:
	.byte	0                               ; 0x0
	.size	__hip_cuid_e0d186b2edc462eb, 1

	.ident	"AMD clang version 19.0.0git (https://github.com/RadeonOpenCompute/llvm-project roc-6.4.0 25133 c7fe45cf4b819c5991fe208aaa96edf142730f1d)"
	.section	".note.GNU-stack","",@progbits
	.addrsig
	.addrsig_sym __hip_cuid_e0d186b2edc462eb
	.amdgpu_metadata
---
amdhsa.kernels:
  - .args:
      - .actual_access:  read_only
        .address_space:  global
        .offset:         0
        .size:           8
        .value_kind:     global_buffer
      - .offset:         8
        .size:           8
        .value_kind:     by_value
      - .actual_access:  read_only
        .address_space:  global
        .offset:         16
        .size:           8
        .value_kind:     global_buffer
      - .actual_access:  read_only
        .address_space:  global
        .offset:         24
        .size:           8
        .value_kind:     global_buffer
      - .offset:         32
        .size:           8
        .value_kind:     by_value
      - .actual_access:  read_only
        .address_space:  global
        .offset:         40
        .size:           8
        .value_kind:     global_buffer
      - .actual_access:  read_only
        .address_space:  global
        .offset:         48
        .size:           8
        .value_kind:     global_buffer
      - .offset:         56
        .size:           4
        .value_kind:     by_value
      - .actual_access:  read_only
        .address_space:  global
        .offset:         64
        .size:           8
        .value_kind:     global_buffer
      - .actual_access:  read_only
        .address_space:  global
        .offset:         72
        .size:           8
        .value_kind:     global_buffer
      - .address_space:  global
        .offset:         80
        .size:           8
        .value_kind:     global_buffer
    .group_segment_fixed_size: 0
    .kernarg_segment_align: 8
    .kernarg_segment_size: 88
    .language:       OpenCL C
    .language_version:
      - 2
      - 0
    .max_flat_workgroup_size: 225
    .name:           fft_rtc_fwd_len1200_factors_5_5_16_3_wgs_225_tpt_75_halfLds_sp_ip_CI_unitstride_sbrr_dirReg
    .private_segment_fixed_size: 0
    .sgpr_count:     26
    .sgpr_spill_count: 0
    .symbol:         fft_rtc_fwd_len1200_factors_5_5_16_3_wgs_225_tpt_75_halfLds_sp_ip_CI_unitstride_sbrr_dirReg.kd
    .uniform_work_group_size: 1
    .uses_dynamic_stack: false
    .vgpr_count:     90
    .vgpr_spill_count: 0
    .wavefront_size: 64
amdhsa.target:   amdgcn-amd-amdhsa--gfx906
amdhsa.version:
  - 1
  - 2
...

	.end_amdgpu_metadata
